;; amdgpu-corpus repo=ROCm/rocFFT kind=compiled arch=gfx1201 opt=O3
	.text
	.amdgcn_target "amdgcn-amd-amdhsa--gfx1201"
	.amdhsa_code_object_version 6
	.protected	fft_rtc_back_len896_factors_2_2_2_2_2_2_2_7_wgs_112_tpt_112_sp_ip_CI_unitstride_sbrr_C2R_dirReg ; -- Begin function fft_rtc_back_len896_factors_2_2_2_2_2_2_2_7_wgs_112_tpt_112_sp_ip_CI_unitstride_sbrr_C2R_dirReg
	.globl	fft_rtc_back_len896_factors_2_2_2_2_2_2_2_7_wgs_112_tpt_112_sp_ip_CI_unitstride_sbrr_C2R_dirReg
	.p2align	8
	.type	fft_rtc_back_len896_factors_2_2_2_2_2_2_2_7_wgs_112_tpt_112_sp_ip_CI_unitstride_sbrr_C2R_dirReg,@function
fft_rtc_back_len896_factors_2_2_2_2_2_2_2_7_wgs_112_tpt_112_sp_ip_CI_unitstride_sbrr_C2R_dirReg: ; @fft_rtc_back_len896_factors_2_2_2_2_2_2_2_7_wgs_112_tpt_112_sp_ip_CI_unitstride_sbrr_C2R_dirReg
; %bb.0:
	s_clause 0x2
	s_load_b128 s[4:7], s[0:1], 0x0
	s_load_b64 s[8:9], s[0:1], 0x50
	s_load_b64 s[10:11], s[0:1], 0x18
	v_mul_u32_u24_e32 v1, 0x24a, v0
	v_mov_b32_e32 v3, 0
	s_delay_alu instid0(VALU_DEP_2) | instskip(NEXT) | instid1(VALU_DEP_1)
	v_lshrrev_b32_e32 v1, 16, v1
	v_add_nc_u32_e32 v5, ttmp9, v1
	v_mov_b32_e32 v1, 0
	v_mov_b32_e32 v2, 0
	;; [unrolled: 1-line block ×3, first 2 shown]
	s_wait_kmcnt 0x0
	v_cmp_lt_u64_e64 s2, s[6:7], 2
	s_delay_alu instid0(VALU_DEP_1)
	s_and_b32 vcc_lo, exec_lo, s2
	s_cbranch_vccnz .LBB0_8
; %bb.1:
	s_load_b64 s[2:3], s[0:1], 0x10
	v_mov_b32_e32 v1, 0
	v_mov_b32_e32 v2, 0
	s_add_nc_u64 s[12:13], s[10:11], 8
	s_mov_b64 s[14:15], 1
	s_wait_kmcnt 0x0
	s_add_nc_u64 s[16:17], s[2:3], 8
	s_mov_b32 s3, 0
.LBB0_2:                                ; =>This Inner Loop Header: Depth=1
	s_load_b64 s[18:19], s[16:17], 0x0
                                        ; implicit-def: $vgpr7_vgpr8
	s_mov_b32 s2, exec_lo
	s_wait_kmcnt 0x0
	v_or_b32_e32 v4, s19, v6
	s_delay_alu instid0(VALU_DEP_1)
	v_cmpx_ne_u64_e32 0, v[3:4]
	s_wait_alu 0xfffe
	s_xor_b32 s20, exec_lo, s2
	s_cbranch_execz .LBB0_4
; %bb.3:                                ;   in Loop: Header=BB0_2 Depth=1
	s_cvt_f32_u32 s2, s18
	s_cvt_f32_u32 s21, s19
	s_sub_nc_u64 s[24:25], 0, s[18:19]
	s_wait_alu 0xfffe
	s_delay_alu instid0(SALU_CYCLE_1) | instskip(SKIP_1) | instid1(SALU_CYCLE_2)
	s_fmamk_f32 s2, s21, 0x4f800000, s2
	s_wait_alu 0xfffe
	v_s_rcp_f32 s2, s2
	s_delay_alu instid0(TRANS32_DEP_1) | instskip(SKIP_1) | instid1(SALU_CYCLE_2)
	s_mul_f32 s2, s2, 0x5f7ffffc
	s_wait_alu 0xfffe
	s_mul_f32 s21, s2, 0x2f800000
	s_wait_alu 0xfffe
	s_delay_alu instid0(SALU_CYCLE_2) | instskip(SKIP_1) | instid1(SALU_CYCLE_2)
	s_trunc_f32 s21, s21
	s_wait_alu 0xfffe
	s_fmamk_f32 s2, s21, 0xcf800000, s2
	s_cvt_u32_f32 s23, s21
	s_wait_alu 0xfffe
	s_delay_alu instid0(SALU_CYCLE_1) | instskip(SKIP_1) | instid1(SALU_CYCLE_2)
	s_cvt_u32_f32 s22, s2
	s_wait_alu 0xfffe
	s_mul_u64 s[26:27], s[24:25], s[22:23]
	s_wait_alu 0xfffe
	s_mul_hi_u32 s29, s22, s27
	s_mul_i32 s28, s22, s27
	s_mul_hi_u32 s2, s22, s26
	s_mul_i32 s30, s23, s26
	s_wait_alu 0xfffe
	s_add_nc_u64 s[28:29], s[2:3], s[28:29]
	s_mul_hi_u32 s21, s23, s26
	s_mul_hi_u32 s31, s23, s27
	s_add_co_u32 s2, s28, s30
	s_wait_alu 0xfffe
	s_add_co_ci_u32 s2, s29, s21
	s_mul_i32 s26, s23, s27
	s_add_co_ci_u32 s27, s31, 0
	s_wait_alu 0xfffe
	s_add_nc_u64 s[26:27], s[2:3], s[26:27]
	s_wait_alu 0xfffe
	v_add_co_u32 v4, s2, s22, s26
	s_delay_alu instid0(VALU_DEP_1) | instskip(SKIP_1) | instid1(VALU_DEP_1)
	s_cmp_lg_u32 s2, 0
	s_add_co_ci_u32 s23, s23, s27
	v_readfirstlane_b32 s22, v4
	s_wait_alu 0xfffe
	s_delay_alu instid0(VALU_DEP_1)
	s_mul_u64 s[24:25], s[24:25], s[22:23]
	s_wait_alu 0xfffe
	s_mul_hi_u32 s27, s22, s25
	s_mul_i32 s26, s22, s25
	s_mul_hi_u32 s2, s22, s24
	s_mul_i32 s28, s23, s24
	s_wait_alu 0xfffe
	s_add_nc_u64 s[26:27], s[2:3], s[26:27]
	s_mul_hi_u32 s21, s23, s24
	s_mul_hi_u32 s22, s23, s25
	s_wait_alu 0xfffe
	s_add_co_u32 s2, s26, s28
	s_add_co_ci_u32 s2, s27, s21
	s_mul_i32 s24, s23, s25
	s_add_co_ci_u32 s25, s22, 0
	s_wait_alu 0xfffe
	s_add_nc_u64 s[24:25], s[2:3], s[24:25]
	s_wait_alu 0xfffe
	v_add_co_u32 v4, s2, v4, s24
	s_delay_alu instid0(VALU_DEP_1) | instskip(SKIP_1) | instid1(VALU_DEP_1)
	s_cmp_lg_u32 s2, 0
	s_add_co_ci_u32 s2, s23, s25
	v_mul_hi_u32 v13, v5, v4
	s_wait_alu 0xfffe
	v_mad_co_u64_u32 v[7:8], null, v5, s2, 0
	v_mad_co_u64_u32 v[9:10], null, v6, v4, 0
	;; [unrolled: 1-line block ×3, first 2 shown]
	s_delay_alu instid0(VALU_DEP_3) | instskip(SKIP_1) | instid1(VALU_DEP_4)
	v_add_co_u32 v4, vcc_lo, v13, v7
	s_wait_alu 0xfffd
	v_add_co_ci_u32_e32 v7, vcc_lo, 0, v8, vcc_lo
	s_delay_alu instid0(VALU_DEP_2) | instskip(SKIP_1) | instid1(VALU_DEP_2)
	v_add_co_u32 v4, vcc_lo, v4, v9
	s_wait_alu 0xfffd
	v_add_co_ci_u32_e32 v4, vcc_lo, v7, v10, vcc_lo
	s_wait_alu 0xfffd
	v_add_co_ci_u32_e32 v7, vcc_lo, 0, v12, vcc_lo
	s_delay_alu instid0(VALU_DEP_2) | instskip(SKIP_1) | instid1(VALU_DEP_2)
	v_add_co_u32 v4, vcc_lo, v4, v11
	s_wait_alu 0xfffd
	v_add_co_ci_u32_e32 v9, vcc_lo, 0, v7, vcc_lo
	s_delay_alu instid0(VALU_DEP_2) | instskip(SKIP_1) | instid1(VALU_DEP_3)
	v_mul_lo_u32 v10, s19, v4
	v_mad_co_u64_u32 v[7:8], null, s18, v4, 0
	v_mul_lo_u32 v11, s18, v9
	s_delay_alu instid0(VALU_DEP_2) | instskip(NEXT) | instid1(VALU_DEP_2)
	v_sub_co_u32 v7, vcc_lo, v5, v7
	v_add3_u32 v8, v8, v11, v10
	s_delay_alu instid0(VALU_DEP_1) | instskip(SKIP_1) | instid1(VALU_DEP_1)
	v_sub_nc_u32_e32 v10, v6, v8
	s_wait_alu 0xfffd
	v_subrev_co_ci_u32_e64 v10, s2, s19, v10, vcc_lo
	v_add_co_u32 v11, s2, v4, 2
	s_wait_alu 0xf1ff
	v_add_co_ci_u32_e64 v12, s2, 0, v9, s2
	v_sub_co_u32 v13, s2, v7, s18
	v_sub_co_ci_u32_e32 v8, vcc_lo, v6, v8, vcc_lo
	s_wait_alu 0xf1ff
	v_subrev_co_ci_u32_e64 v10, s2, 0, v10, s2
	s_delay_alu instid0(VALU_DEP_3) | instskip(NEXT) | instid1(VALU_DEP_3)
	v_cmp_le_u32_e32 vcc_lo, s18, v13
	v_cmp_eq_u32_e64 s2, s19, v8
	s_wait_alu 0xfffd
	v_cndmask_b32_e64 v13, 0, -1, vcc_lo
	v_cmp_le_u32_e32 vcc_lo, s19, v10
	s_wait_alu 0xfffd
	v_cndmask_b32_e64 v14, 0, -1, vcc_lo
	v_cmp_le_u32_e32 vcc_lo, s18, v7
	;; [unrolled: 3-line block ×3, first 2 shown]
	s_wait_alu 0xfffd
	v_cndmask_b32_e64 v15, 0, -1, vcc_lo
	v_cmp_eq_u32_e32 vcc_lo, s19, v10
	s_wait_alu 0xf1ff
	s_delay_alu instid0(VALU_DEP_2)
	v_cndmask_b32_e64 v7, v15, v7, s2
	s_wait_alu 0xfffd
	v_cndmask_b32_e32 v10, v14, v13, vcc_lo
	v_add_co_u32 v13, vcc_lo, v4, 1
	s_wait_alu 0xfffd
	v_add_co_ci_u32_e32 v14, vcc_lo, 0, v9, vcc_lo
	s_delay_alu instid0(VALU_DEP_3) | instskip(SKIP_2) | instid1(VALU_DEP_3)
	v_cmp_ne_u32_e32 vcc_lo, 0, v10
	s_wait_alu 0xfffd
	v_cndmask_b32_e32 v10, v13, v11, vcc_lo
	v_cndmask_b32_e32 v8, v14, v12, vcc_lo
	v_cmp_ne_u32_e32 vcc_lo, 0, v7
	s_wait_alu 0xfffd
	s_delay_alu instid0(VALU_DEP_2)
	v_dual_cndmask_b32 v7, v4, v10 :: v_dual_cndmask_b32 v8, v9, v8
.LBB0_4:                                ;   in Loop: Header=BB0_2 Depth=1
	s_wait_alu 0xfffe
	s_and_not1_saveexec_b32 s2, s20
	s_cbranch_execz .LBB0_6
; %bb.5:                                ;   in Loop: Header=BB0_2 Depth=1
	v_cvt_f32_u32_e32 v4, s18
	s_sub_co_i32 s20, 0, s18
	s_delay_alu instid0(VALU_DEP_1) | instskip(NEXT) | instid1(TRANS32_DEP_1)
	v_rcp_iflag_f32_e32 v4, v4
	v_mul_f32_e32 v4, 0x4f7ffffe, v4
	s_delay_alu instid0(VALU_DEP_1) | instskip(SKIP_1) | instid1(VALU_DEP_1)
	v_cvt_u32_f32_e32 v4, v4
	s_wait_alu 0xfffe
	v_mul_lo_u32 v7, s20, v4
	s_delay_alu instid0(VALU_DEP_1) | instskip(NEXT) | instid1(VALU_DEP_1)
	v_mul_hi_u32 v7, v4, v7
	v_add_nc_u32_e32 v4, v4, v7
	s_delay_alu instid0(VALU_DEP_1) | instskip(NEXT) | instid1(VALU_DEP_1)
	v_mul_hi_u32 v4, v5, v4
	v_mul_lo_u32 v7, v4, s18
	v_add_nc_u32_e32 v8, 1, v4
	s_delay_alu instid0(VALU_DEP_2) | instskip(NEXT) | instid1(VALU_DEP_1)
	v_sub_nc_u32_e32 v7, v5, v7
	v_subrev_nc_u32_e32 v9, s18, v7
	v_cmp_le_u32_e32 vcc_lo, s18, v7
	s_wait_alu 0xfffd
	s_delay_alu instid0(VALU_DEP_2) | instskip(NEXT) | instid1(VALU_DEP_1)
	v_dual_cndmask_b32 v7, v7, v9 :: v_dual_cndmask_b32 v4, v4, v8
	v_cmp_le_u32_e32 vcc_lo, s18, v7
	s_delay_alu instid0(VALU_DEP_2) | instskip(SKIP_1) | instid1(VALU_DEP_1)
	v_add_nc_u32_e32 v8, 1, v4
	s_wait_alu 0xfffd
	v_dual_cndmask_b32 v7, v4, v8 :: v_dual_mov_b32 v8, v3
.LBB0_6:                                ;   in Loop: Header=BB0_2 Depth=1
	s_wait_alu 0xfffe
	s_or_b32 exec_lo, exec_lo, s2
	s_load_b64 s[20:21], s[12:13], 0x0
	s_delay_alu instid0(VALU_DEP_1)
	v_mul_lo_u32 v4, v8, s18
	v_mul_lo_u32 v11, v7, s19
	v_mad_co_u64_u32 v[9:10], null, v7, s18, 0
	s_add_nc_u64 s[14:15], s[14:15], 1
	s_add_nc_u64 s[12:13], s[12:13], 8
	s_wait_alu 0xfffe
	v_cmp_ge_u64_e64 s2, s[14:15], s[6:7]
	s_add_nc_u64 s[16:17], s[16:17], 8
	s_delay_alu instid0(VALU_DEP_2) | instskip(NEXT) | instid1(VALU_DEP_3)
	v_add3_u32 v4, v10, v11, v4
	v_sub_co_u32 v5, vcc_lo, v5, v9
	s_wait_alu 0xfffd
	s_delay_alu instid0(VALU_DEP_2) | instskip(SKIP_3) | instid1(VALU_DEP_2)
	v_sub_co_ci_u32_e32 v4, vcc_lo, v6, v4, vcc_lo
	s_and_b32 vcc_lo, exec_lo, s2
	s_wait_kmcnt 0x0
	v_mul_lo_u32 v6, s21, v5
	v_mul_lo_u32 v4, s20, v4
	v_mad_co_u64_u32 v[1:2], null, s20, v5, v[1:2]
	s_delay_alu instid0(VALU_DEP_1)
	v_add3_u32 v2, v6, v2, v4
	s_wait_alu 0xfffe
	s_cbranch_vccnz .LBB0_9
; %bb.7:                                ;   in Loop: Header=BB0_2 Depth=1
	v_dual_mov_b32 v5, v7 :: v_dual_mov_b32 v6, v8
	s_branch .LBB0_2
.LBB0_8:
	v_dual_mov_b32 v8, v6 :: v_dual_mov_b32 v7, v5
.LBB0_9:
	s_lshl_b64 s[2:3], s[6:7], 3
	v_mul_hi_u32 v5, 0x2492493, v0
	s_wait_alu 0xfffe
	s_add_nc_u64 s[2:3], s[10:11], s[2:3]
	s_load_b64 s[2:3], s[2:3], 0x0
	s_load_b64 s[0:1], s[0:1], 0x20
	s_wait_kmcnt 0x0
	v_mul_lo_u32 v3, s2, v8
	v_mul_lo_u32 v4, s3, v7
	v_mad_co_u64_u32 v[1:2], null, s2, v7, v[1:2]
	v_cmp_gt_u64_e32 vcc_lo, s[0:1], v[7:8]
	s_delay_alu instid0(VALU_DEP_2) | instskip(SKIP_1) | instid1(VALU_DEP_2)
	v_add3_u32 v2, v4, v2, v3
	v_mul_u32_u24_e32 v3, 0x70, v5
	v_lshlrev_b64_e32 v[26:27], 3, v[1:2]
	s_delay_alu instid0(VALU_DEP_2)
	v_sub_nc_u32_e32 v24, v0, v3
	s_and_saveexec_b32 s1, vcc_lo
	s_cbranch_execz .LBB0_13
; %bb.10:
	s_delay_alu instid0(VALU_DEP_1)
	v_lshl_add_u32 v18, v24, 3, 0
	v_mov_b32_e32 v25, 0
	v_add_co_u32 v0, s0, s8, v26
	s_wait_alu 0xf1ff
	v_add_co_ci_u32_e64 v1, s0, s9, v27, s0
	v_add_nc_u32_e32 v20, 0xc00, v18
	v_lshlrev_b64_e32 v[2:3], 3, v[24:25]
	v_add_nc_u32_e32 v19, 0x400, v18
	v_add_nc_u32_e32 v21, 0x1400, v18
	s_mov_b32 s2, exec_lo
	s_delay_alu instid0(VALU_DEP_3)
	v_add_co_u32 v2, s0, v0, v2
	s_wait_alu 0xf1ff
	v_add_co_ci_u32_e64 v3, s0, v1, v3, s0
	s_clause 0x7
	global_load_b64 v[4:5], v[2:3], off
	global_load_b64 v[6:7], v[2:3], off offset:896
	global_load_b64 v[8:9], v[2:3], off offset:1792
	;; [unrolled: 1-line block ×7, first 2 shown]
	s_wait_loadcnt 0x6
	ds_store_2addr_b64 v18, v[4:5], v[6:7] offset1:112
	s_wait_loadcnt 0x4
	ds_store_2addr_b64 v19, v[8:9], v[10:11] offset0:96 offset1:208
	s_wait_loadcnt 0x2
	ds_store_2addr_b64 v20, v[12:13], v[14:15] offset0:64 offset1:176
	s_wait_loadcnt 0x0
	ds_store_2addr_b64 v21, v[16:17], v[2:3] offset0:32 offset1:144
	v_cmpx_eq_u32_e32 0x6f, v24
	s_cbranch_execz .LBB0_12
; %bb.11:
	global_load_b64 v[0:1], v[0:1], off offset:7168
	v_mov_b32_e32 v24, 0x6f
	s_wait_loadcnt 0x0
	ds_store_b64 v25, v[0:1] offset:7168
.LBB0_12:
	s_wait_alu 0xfffe
	s_or_b32 exec_lo, exec_lo, s2
.LBB0_13:
	s_wait_alu 0xfffe
	s_or_b32 exec_lo, exec_lo, s1
	v_lshlrev_b32_e32 v0, 3, v24
	global_wb scope:SCOPE_SE
	s_wait_dscnt 0x0
	s_barrier_signal -1
	s_barrier_wait -1
	global_inv scope:SCOPE_SE
	v_add_nc_u32_e32 v32, 0, v0
	v_sub_nc_u32_e32 v4, 0, v0
	s_mov_b32 s1, exec_lo
                                        ; implicit-def: $vgpr2_vgpr3
	ds_load_b32 v5, v32
	ds_load_b32 v6, v4 offset:7168
	s_wait_dscnt 0x0
	v_dual_sub_f32 v1, v5, v6 :: v_dual_add_f32 v0, v6, v5
	v_cmpx_ne_u32_e32 0, v24
	s_wait_alu 0xfffe
	s_xor_b32 s1, exec_lo, s1
	s_cbranch_execz .LBB0_15
; %bb.14:
	v_dual_mov_b32 v25, 0 :: v_dual_sub_f32 v8, v5, v6
	s_delay_alu instid0(VALU_DEP_1) | instskip(NEXT) | instid1(VALU_DEP_1)
	v_lshlrev_b64_e32 v[0:1], 3, v[24:25]
	v_add_co_u32 v0, s0, s4, v0
	s_wait_alu 0xf1ff
	s_delay_alu instid0(VALU_DEP_2)
	v_add_co_ci_u32_e64 v1, s0, s5, v1, s0
	global_load_b64 v[2:3], v[0:1], off offset:7152
	ds_load_b32 v0, v4 offset:7172
	ds_load_b32 v1, v32 offset:4
	v_add_f32_e32 v7, v6, v5
	s_wait_dscnt 0x0
	v_dual_add_f32 v9, v0, v1 :: v_dual_sub_f32 v0, v1, v0
	s_wait_loadcnt 0x0
	s_delay_alu instid0(VALU_DEP_2) | instskip(NEXT) | instid1(VALU_DEP_2)
	v_fma_f32 v5, -v8, v3, v7
	v_fma_f32 v6, v9, v3, -v0
	v_fma_f32 v10, v8, v3, v7
	v_fma_f32 v1, v9, v3, v0
	s_delay_alu instid0(VALU_DEP_3) | instskip(NEXT) | instid1(VALU_DEP_3)
	v_dual_fmac_f32 v5, v2, v9 :: v_dual_fmac_f32 v6, v8, v2
	v_fma_f32 v0, -v2, v9, v10
	s_delay_alu instid0(VALU_DEP_3)
	v_fmac_f32_e32 v1, v8, v2
	v_dual_mov_b32 v2, v24 :: v_dual_mov_b32 v3, v25
	ds_store_b64 v4, v[5:6] offset:7168
.LBB0_15:
	s_wait_alu 0xfffe
	s_and_not1_saveexec_b32 s0, s1
	s_cbranch_execz .LBB0_17
; %bb.16:
	v_mov_b32_e32 v7, 0
	ds_load_b64 v[2:3], v7 offset:3584
	s_wait_dscnt 0x0
	v_dual_mul_f32 v6, -2.0, v3 :: v_dual_add_f32 v5, v2, v2
	v_mov_b32_e32 v2, 0
	v_mov_b32_e32 v3, 0
	ds_store_b64 v7, v[5:6] offset:3584
.LBB0_17:
	s_wait_alu 0xfffe
	s_or_b32 exec_lo, exec_lo, s0
	v_lshlrev_b64_e32 v[2:3], 3, v[2:3]
	s_add_nc_u64 s[0:1], s[4:5], 0x1bf0
	s_wait_alu 0xfffe
	s_delay_alu instid0(VALU_DEP_1) | instskip(SKIP_1) | instid1(VALU_DEP_2)
	v_add_co_u32 v2, s0, s0, v2
	s_wait_alu 0xf1ff
	v_add_co_ci_u32_e64 v3, s0, s1, v3, s0
	v_cmp_gt_u32_e64 s0, 16, v24
	s_clause 0x2
	global_load_b64 v[5:6], v[2:3], off offset:896
	global_load_b64 v[7:8], v[2:3], off offset:1792
	;; [unrolled: 1-line block ×3, first 2 shown]
	ds_store_b64 v32, v[0:1]
	ds_load_b64 v[0:1], v32 offset:896
	ds_load_b64 v[9:10], v4 offset:6272
	s_wait_dscnt 0x0
	v_add_f32_e32 v11, v0, v9
	v_add_f32_e32 v12, v10, v1
	v_dual_sub_f32 v13, v0, v9 :: v_dual_sub_f32 v0, v1, v10
	s_wait_loadcnt 0x2
	s_delay_alu instid0(VALU_DEP_1) | instskip(NEXT) | instid1(VALU_DEP_2)
	v_fma_f32 v14, v13, v6, v11
	v_fma_f32 v1, v12, v6, v0
	v_fma_f32 v9, -v13, v6, v11
	v_fma_f32 v10, v12, v6, -v0
	s_delay_alu instid0(VALU_DEP_4) | instskip(NEXT) | instid1(VALU_DEP_4)
	v_fma_f32 v0, -v5, v12, v14
	v_fmac_f32_e32 v1, v13, v5
	s_delay_alu instid0(VALU_DEP_4) | instskip(NEXT) | instid1(VALU_DEP_4)
	v_fmac_f32_e32 v9, v5, v12
	v_fmac_f32_e32 v10, v13, v5
	ds_store_b64 v32, v[0:1] offset:896
	ds_store_b64 v4, v[9:10] offset:6272
	ds_load_b64 v[0:1], v32 offset:1792
	ds_load_b64 v[5:6], v4 offset:5376
	s_wait_dscnt 0x0
	v_add_f32_e32 v9, v0, v5
	v_add_f32_e32 v10, v6, v1
	v_dual_sub_f32 v11, v0, v5 :: v_dual_sub_f32 v0, v1, v6
	s_wait_loadcnt 0x1
	s_delay_alu instid0(VALU_DEP_1) | instskip(NEXT) | instid1(VALU_DEP_2)
	v_fma_f32 v12, v11, v8, v9
	v_fma_f32 v1, v10, v8, v0
	v_fma_f32 v5, -v11, v8, v9
	v_fma_f32 v6, v10, v8, -v0
	s_delay_alu instid0(VALU_DEP_4) | instskip(NEXT) | instid1(VALU_DEP_4)
	v_fma_f32 v0, -v7, v10, v12
	v_fmac_f32_e32 v1, v11, v7
	s_delay_alu instid0(VALU_DEP_4) | instskip(NEXT) | instid1(VALU_DEP_4)
	v_fmac_f32_e32 v5, v7, v10
	v_fmac_f32_e32 v6, v11, v7
	ds_store_b64 v32, v[0:1] offset:1792
	ds_store_b64 v4, v[5:6] offset:5376
	ds_load_b64 v[0:1], v32 offset:2688
	ds_load_b64 v[5:6], v4 offset:4480
	s_wait_dscnt 0x0
	v_add_f32_e32 v7, v0, v5
	v_sub_f32_e32 v0, v0, v5
	v_add_f32_e32 v9, v6, v1
	v_sub_f32_e32 v1, v1, v6
	s_wait_loadcnt 0x0
	s_delay_alu instid0(VALU_DEP_3) | instskip(SKIP_1) | instid1(VALU_DEP_3)
	v_fma_f32 v5, v0, v3, v7
	v_fma_f32 v7, -v0, v3, v7
	v_fma_f32 v6, v9, v3, v1
	s_delay_alu instid0(VALU_DEP_1)
	v_fmac_f32_e32 v6, v0, v2
	v_fma_f32 v8, v9, v3, -v1
	v_fma_f32 v5, -v2, v9, v5
	v_fmac_f32_e32 v7, v2, v9
	v_add_nc_u32_e32 v1, 0xc00, v32
	v_lshl_add_u32 v3, v24, 3, v32
	v_fmac_f32_e32 v8, v0, v2
	v_add_nc_u32_e32 v0, 0x400, v32
	v_add_nc_u32_e32 v2, 0x1400, v32
	ds_store_b64 v32, v[5:6] offset:2688
	ds_store_b64 v4, v[7:8] offset:4480
	global_wb scope:SCOPE_SE
	s_wait_dscnt 0x0
	s_barrier_signal -1
	s_barrier_wait -1
	global_inv scope:SCOPE_SE
	global_wb scope:SCOPE_SE
	s_barrier_signal -1
	s_barrier_wait -1
	global_inv scope:SCOPE_SE
	ds_load_2addr_b64 v[7:10], v32 offset1:112
	ds_load_2addr_b64 v[11:14], v1 offset0:64 offset1:176
	ds_load_2addr_b64 v[15:18], v0 offset0:96 offset1:208
	;; [unrolled: 1-line block ×3, first 2 shown]
	v_and_b32_e32 v23, 1, v24
	v_add_nc_u32_e32 v25, 0x70, v24
	v_add_nc_u32_e32 v6, 0xe0, v24
	;; [unrolled: 1-line block ×3, first 2 shown]
	global_wb scope:SCOPE_SE
	s_wait_dscnt 0x0
	s_barrier_signal -1
	s_barrier_wait -1
	v_lshl_add_u32 v28, v6, 4, 0
	v_lshl_add_u32 v29, v4, 4, 0
	global_inv scope:SCOPE_SE
	v_dual_sub_f32 v14, v10, v14 :: v_dual_sub_f32 v11, v7, v11
	v_dual_sub_f32 v12, v8, v12 :: v_dual_sub_f32 v13, v9, v13
	v_sub_f32_e32 v22, v18, v22
	v_lshlrev_b32_e32 v30, 3, v23
	v_dual_sub_f32 v19, v15, v19 :: v_dual_sub_f32 v20, v16, v20
	v_sub_f32_e32 v21, v17, v21
	v_fma_f32 v7, v7, 2.0, -v11
	v_fma_f32 v8, v8, 2.0, -v12
	v_lshl_add_u32 v5, v25, 4, 0
	v_fma_f32 v9, v9, 2.0, -v13
	v_fma_f32 v10, v10, 2.0, -v14
	;; [unrolled: 1-line block ×6, first 2 shown]
	ds_store_2addr_b64 v3, v[7:8], v[11:12] offset1:1
	ds_store_2addr_b64 v5, v[9:10], v[13:14] offset1:1
	;; [unrolled: 1-line block ×4, first 2 shown]
	v_lshlrev_b32_e32 v8, 1, v24
	global_wb scope:SCOPE_SE
	s_wait_dscnt 0x0
	s_barrier_signal -1
	s_barrier_wait -1
	global_inv scope:SCOPE_SE
	global_load_b64 v[21:22], v30, s[4:5]
	ds_load_2addr_b64 v[9:12], v1 offset0:64 offset1:176
	ds_load_2addr_b64 v[13:16], v2 offset0:32 offset1:144
	v_lshlrev_b32_e32 v7, 1, v25
	v_lshlrev_b32_e32 v5, 1, v6
	;; [unrolled: 1-line block ×3, first 2 shown]
	v_and_or_b32 v17, 0xfc, v8, v23
	v_and_b32_e32 v33, 3, v24
	v_and_b32_e32 v6, 63, v6
	s_delay_alu instid0(VALU_DEP_3)
	v_lshl_add_u32 v34, v17, 3, 0
	s_wait_loadcnt_dscnt 0x1
	v_mul_f32_e32 v38, v22, v10
	v_and_or_b32 v18, 0x1fc, v7, v23
	v_mul_f32_e32 v40, v22, v12
	v_and_or_b32 v19, 0x3fc, v5, v23
	s_wait_dscnt 0x0
	v_mul_f32_e32 v42, v22, v14
	v_and_or_b32 v20, 0x3fc, v3, v23
	v_lshl_add_u32 v35, v18, 3, 0
	v_dual_mul_f32 v41, v22, v11 :: v_dual_fmac_f32 v38, v21, v9
	v_lshl_add_u32 v36, v19, 3, 0
	s_delay_alu instid0(VALU_DEP_4)
	v_lshl_add_u32 v37, v20, 3, 0
	ds_load_2addr_b64 v[17:20], v32 offset1:112
	ds_load_2addr_b64 v[28:31], v0 offset0:96 offset1:208
	v_mul_f32_e32 v44, v22, v16
	v_mul_f32_e32 v39, v22, v9
	v_fma_f32 v12, v21, v12, -v41
	v_mul_f32_e32 v43, v22, v13
	v_dual_mul_f32 v22, v22, v15 :: v_dual_lshlrev_b32 v23, 3, v33
	v_fmac_f32_e32 v40, v21, v11
	v_fmac_f32_e32 v42, v21, v13
	global_wb scope:SCOPE_SE
	s_wait_dscnt 0x0
	v_fma_f32 v16, v21, v16, -v22
	s_barrier_signal -1
	s_barrier_wait -1
	global_inv scope:SCOPE_SE
	v_sub_f32_e32 v11, v19, v40
	v_sub_f32_e32 v9, v17, v38
	v_fmac_f32_e32 v44, v21, v15
	v_fma_f32 v10, v21, v10, -v39
	v_sub_f32_e32 v12, v20, v12
	v_fma_f32 v14, v21, v14, -v43
	v_dual_sub_f32 v13, v28, v42 :: v_dual_sub_f32 v16, v31, v16
	s_delay_alu instid0(VALU_DEP_4) | instskip(NEXT) | instid1(VALU_DEP_3)
	v_sub_f32_e32 v10, v18, v10
	v_dual_sub_f32 v15, v30, v44 :: v_dual_sub_f32 v14, v29, v14
	v_fma_f32 v17, v17, 2.0, -v9
	v_fma_f32 v19, v19, 2.0, -v11
	s_delay_alu instid0(VALU_DEP_4)
	v_fma_f32 v18, v18, 2.0, -v10
	v_fma_f32 v20, v20, 2.0, -v12
	;; [unrolled: 1-line block ×6, first 2 shown]
	ds_store_2addr_b64 v34, v[17:18], v[9:10] offset1:2
	ds_store_2addr_b64 v35, v[19:20], v[11:12] offset1:2
	;; [unrolled: 1-line block ×4, first 2 shown]
	global_wb scope:SCOPE_SE
	s_wait_dscnt 0x0
	s_barrier_signal -1
	s_barrier_wait -1
	global_inv scope:SCOPE_SE
	global_load_b64 v[21:22], v23, s[4:5] offset:16
	ds_load_2addr_b64 v[9:12], v1 offset0:64 offset1:176
	ds_load_2addr_b64 v[13:16], v2 offset0:32 offset1:144
	v_and_or_b32 v17, 0xf8, v8, v33
	v_and_or_b32 v18, 0x1f8, v7, v33
	;; [unrolled: 1-line block ×4, first 2 shown]
	v_and_b32_e32 v23, 7, v24
	v_lshl_add_u32 v34, v17, 3, 0
	v_lshl_add_u32 v35, v18, 3, 0
	;; [unrolled: 1-line block ×4, first 2 shown]
	ds_load_2addr_b64 v[17:20], v32 offset1:112
	ds_load_b32 v38, v32 offset:900
	ds_load_2addr_b64 v[28:31], v0 offset0:96 offset1:208
	v_lshlrev_b32_e32 v33, 3, v23
	global_wb scope:SCOPE_SE
	s_wait_loadcnt_dscnt 0x0
	s_barrier_signal -1
	s_barrier_wait -1
	global_inv scope:SCOPE_SE
	v_mul_f32_e32 v40, v22, v9
	v_mul_f32_e32 v42, v22, v11
	;; [unrolled: 1-line block ×5, first 2 shown]
	s_delay_alu instid0(VALU_DEP_3)
	v_fma_f32 v14, v21, v14, -v44
	v_mul_f32_e32 v41, v22, v12
	v_fma_f32 v12, v21, v12, -v42
	v_mul_f32_e32 v39, v22, v10
	v_mul_f32_e32 v22, v22, v15
	v_fma_f32 v10, v21, v10, -v40
	v_sub_f32_e32 v14, v29, v14
	s_delay_alu instid0(VALU_DEP_4) | instskip(NEXT) | instid1(VALU_DEP_4)
	v_dual_sub_f32 v12, v20, v12 :: v_dual_fmac_f32 v39, v21, v9
	v_fma_f32 v16, v21, v16, -v22
	v_fmac_f32_e32 v41, v21, v11
	v_dual_fmac_f32 v45, v21, v15 :: v_dual_sub_f32 v10, v18, v10
	s_delay_alu instid0(VALU_DEP_3) | instskip(SKIP_1) | instid1(VALU_DEP_4)
	v_dual_sub_f32 v9, v17, v39 :: v_dual_sub_f32 v16, v31, v16
	v_fmac_f32_e32 v43, v21, v13
	v_sub_f32_e32 v11, v19, v41
	s_delay_alu instid0(VALU_DEP_4) | instskip(NEXT) | instid1(VALU_DEP_4)
	v_sub_f32_e32 v15, v30, v45
	v_fma_f32 v17, v17, 2.0, -v9
	v_fma_f32 v18, v18, 2.0, -v10
	v_sub_f32_e32 v13, v28, v43
	v_fma_f32 v19, v19, 2.0, -v11
	v_fma_f32 v20, v38, 2.0, -v12
	;; [unrolled: 1-line block ×6, first 2 shown]
	ds_store_2addr_b64 v34, v[17:18], v[9:10] offset1:4
	ds_store_2addr_b64 v35, v[19:20], v[11:12] offset1:4
	;; [unrolled: 1-line block ×4, first 2 shown]
	global_wb scope:SCOPE_SE
	s_wait_dscnt 0x0
	s_barrier_signal -1
	s_barrier_wait -1
	global_inv scope:SCOPE_SE
	global_load_b64 v[21:22], v33, s[4:5] offset:48
	ds_load_2addr_b64 v[9:12], v1 offset0:64 offset1:176
	ds_load_2addr_b64 v[13:16], v2 offset0:32 offset1:144
	v_and_or_b32 v17, 0xf0, v8, v23
	v_and_or_b32 v18, 0x1f0, v7, v23
	;; [unrolled: 1-line block ×4, first 2 shown]
	v_and_b32_e32 v33, 15, v24
	v_lshl_add_u32 v34, v17, 3, 0
	v_lshl_add_u32 v35, v18, 3, 0
	v_lshl_add_u32 v36, v19, 3, 0
	v_lshl_add_u32 v37, v20, 3, 0
	ds_load_2addr_b64 v[17:20], v32 offset1:112
	ds_load_b32 v38, v32 offset:900
	ds_load_2addr_b64 v[28:31], v0 offset0:96 offset1:208
	global_wb scope:SCOPE_SE
	s_wait_loadcnt_dscnt 0x0
	s_barrier_signal -1
	s_barrier_wait -1
	global_inv scope:SCOPE_SE
	v_mul_f32_e32 v42, v22, v11
	v_mul_f32_e32 v39, v22, v10
	;; [unrolled: 1-line block ×8, first 2 shown]
	v_fma_f32 v10, v21, v10, -v40
	v_fmac_f32_e32 v41, v21, v11
	v_fma_f32 v12, v21, v12, -v42
	v_fmac_f32_e32 v43, v21, v13
	v_fma_f32 v16, v21, v16, -v22
	v_fma_f32 v14, v21, v14, -v44
	v_fmac_f32_e32 v45, v21, v15
	v_dual_sub_f32 v10, v18, v10 :: v_dual_lshlrev_b32 v23, 3, v33
	s_delay_alu instid0(VALU_DEP_4) | instskip(SKIP_2) | instid1(VALU_DEP_3)
	v_dual_sub_f32 v16, v31, v16 :: v_dual_fmac_f32 v39, v21, v9
	v_dual_sub_f32 v11, v19, v41 :: v_dual_sub_f32 v12, v20, v12
	v_dual_sub_f32 v13, v28, v43 :: v_dual_sub_f32 v14, v29, v14
	v_sub_f32_e32 v9, v17, v39
	v_sub_f32_e32 v15, v30, v45
	v_fma_f32 v18, v18, 2.0, -v10
	v_fma_f32 v19, v19, 2.0, -v11
	;; [unrolled: 1-line block ×8, first 2 shown]
	ds_store_2addr_b64 v34, v[17:18], v[9:10] offset1:8
	ds_store_2addr_b64 v35, v[19:20], v[11:12] offset1:8
	;; [unrolled: 1-line block ×4, first 2 shown]
	global_wb scope:SCOPE_SE
	s_wait_dscnt 0x0
	s_barrier_signal -1
	s_barrier_wait -1
	global_inv scope:SCOPE_SE
	global_load_b64 v[21:22], v23, s[4:5] offset:112
	ds_load_2addr_b64 v[9:12], v1 offset0:64 offset1:176
	v_and_or_b32 v17, 0xe0, v8, v33
	ds_load_2addr_b64 v[13:16], v2 offset0:32 offset1:144
	v_and_or_b32 v18, 0x1e0, v7, v33
	v_and_or_b32 v19, 0x3e0, v5, v33
	;; [unrolled: 1-line block ×3, first 2 shown]
	v_lshl_add_u32 v33, v17, 3, 0
	v_and_b32_e32 v36, 31, v4
	v_lshl_add_u32 v38, v18, 3, 0
	v_lshl_add_u32 v39, v19, 3, 0
	;; [unrolled: 1-line block ×3, first 2 shown]
	ds_load_2addr_b64 v[17:20], v32 offset1:112
	ds_load_b32 v41, v32 offset:900
	ds_load_2addr_b64 v[28:31], v0 offset0:96 offset1:208
	v_and_b32_e32 v4, 63, v4
	v_lshlrev_b32_e32 v37, 3, v36
	global_wb scope:SCOPE_SE
	s_wait_loadcnt_dscnt 0x0
	s_barrier_signal -1
	s_barrier_wait -1
	global_inv scope:SCOPE_SE
	v_mul_f32_e32 v45, v22, v11
	v_mul_f32_e32 v42, v22, v10
	;; [unrolled: 1-line block ×5, first 2 shown]
	v_fma_f32 v12, v21, v12, -v45
	v_mul_f32_e32 v43, v22, v9
	v_mul_f32_e32 v48, v22, v16
	;; [unrolled: 1-line block ×3, first 2 shown]
	v_fmac_f32_e32 v42, v21, v9
	v_sub_f32_e32 v12, v20, v12
	v_fma_f32 v10, v21, v10, -v43
	v_dual_fmac_f32 v44, v21, v11 :: v_dual_and_b32 v23, 31, v24
	v_fmac_f32_e32 v46, v21, v13
	v_fma_f32 v14, v21, v14, -v47
	v_dual_fmac_f32 v48, v21, v15 :: v_dual_and_b32 v35, 31, v25
	v_fma_f32 v16, v21, v16, -v22
	v_sub_f32_e32 v9, v17, v42
	v_dual_sub_f32 v10, v18, v10 :: v_dual_sub_f32 v11, v19, v44
	v_sub_f32_e32 v13, v28, v46
	v_dual_sub_f32 v14, v29, v14 :: v_dual_sub_f32 v15, v30, v48
	v_sub_f32_e32 v16, v31, v16
	v_lshlrev_b32_e32 v34, 3, v23
	v_fma_f32 v17, v17, 2.0, -v9
	v_fma_f32 v18, v18, 2.0, -v10
	;; [unrolled: 1-line block ×8, first 2 shown]
	ds_store_2addr_b64 v33, v[17:18], v[9:10] offset1:16
	ds_store_2addr_b64 v38, v[19:20], v[11:12] offset1:16
	;; [unrolled: 1-line block ×4, first 2 shown]
	global_wb scope:SCOPE_SE
	s_wait_dscnt 0x0
	s_barrier_signal -1
	s_barrier_wait -1
	global_inv scope:SCOPE_SE
	s_clause 0x1
	global_load_b64 v[21:22], v34, s[4:5] offset:240
	global_load_b64 v[33:34], v37, s[4:5] offset:240
	v_lshlrev_b32_e32 v9, 3, v35
	s_clause 0x1
	global_load_b32 v37, v37, s[4:5] offset:244
	global_load_b32 v38, v9, s[4:5] offset:240
	v_and_or_b32 v17, 0xc0, v8, v23
	ds_load_2addr_b64 v[9:12], v1 offset0:64 offset1:176
	ds_load_2addr_b64 v[13:16], v2 offset0:32 offset1:144
	v_and_or_b32 v18, 0x3c0, v5, v23
	v_and_or_b32 v19, 0x3c0, v3, v36
	v_lshl_add_u32 v42, v17, 3, 0
	v_and_or_b32 v17, 0x1c0, v7, v35
	v_and_b32_e32 v39, 63, v24
	v_lshl_add_u32 v43, v18, 3, 0
	v_lshl_add_u32 v44, v19, 3, 0
	v_and_or_b32 v5, 0x380, v5, v6
	v_lshl_add_u32 v36, v17, 3, 0
	ds_load_2addr_b64 v[17:20], v32 offset1:112
	ds_load_2addr_b64 v[28:31], v0 offset0:96 offset1:208
	global_wb scope:SCOPE_SE
	s_wait_loadcnt_dscnt 0x0
	s_barrier_signal -1
	s_barrier_wait -1
	global_inv scope:SCOPE_SE
	v_and_or_b32 v3, 0x380, v3, v4
	v_mul_f32_e32 v45, v22, v10
	v_mul_f32_e32 v46, v22, v9
	;; [unrolled: 1-line block ×4, first 2 shown]
	v_dual_mul_f32 v49, v37, v16 :: v_dual_lshlrev_b32 v40, 3, v39
	v_mul_f32_e32 v37, v37, v15
	v_fmac_f32_e32 v45, v21, v9
	s_delay_alu instid0(VALU_DEP_4) | instskip(SKIP_3) | instid1(VALU_DEP_4)
	v_fma_f32 v14, v21, v14, -v22
	v_mul_f32_e32 v47, v34, v12
	v_mul_f32_e32 v34, v34, v11
	v_fma_f32 v10, v21, v10, -v46
	v_dual_sub_f32 v14, v29, v14 :: v_dual_and_b32 v41, 63, v25
	s_delay_alu instid0(VALU_DEP_4) | instskip(NEXT) | instid1(VALU_DEP_4)
	v_fmac_f32_e32 v47, v38, v11
	v_fma_f32 v12, v38, v12, -v34
	v_fmac_f32_e32 v48, v21, v13
	v_fmac_f32_e32 v49, v33, v15
	v_fma_f32 v16, v33, v16, -v37
	v_dual_sub_f32 v9, v17, v45 :: v_dual_sub_f32 v10, v18, v10
	v_dual_sub_f32 v12, v20, v12 :: v_dual_lshlrev_b32 v23, 3, v41
	v_sub_f32_e32 v11, v19, v47
	v_sub_f32_e32 v13, v28, v48
	v_dual_sub_f32 v16, v31, v16 :: v_dual_lshlrev_b32 v35, 3, v6
	v_sub_f32_e32 v15, v30, v49
	v_fma_f32 v17, v17, 2.0, -v9
	v_fma_f32 v18, v18, 2.0, -v10
	;; [unrolled: 1-line block ×8, first 2 shown]
	ds_store_2addr_b64 v42, v[17:18], v[9:10] offset1:32
	ds_store_2addr_b64 v36, v[19:20], v[11:12] offset1:32
	;; [unrolled: 1-line block ×4, first 2 shown]
	global_wb scope:SCOPE_SE
	s_wait_dscnt 0x0
	s_barrier_signal -1
	s_barrier_wait -1
	global_inv scope:SCOPE_SE
	global_load_b64 v[21:22], v40, s[4:5] offset:496
	v_lshlrev_b32_e32 v9, 3, v4
	s_clause 0x2
	global_load_b64 v[28:29], v23, s[4:5] offset:496
	global_load_b64 v[30:31], v35, s[4:5] offset:496
	;; [unrolled: 1-line block ×3, first 2 shown]
	ds_load_2addr_b64 v[9:12], v1 offset0:64 offset1:176
	ds_load_2addr_b64 v[13:16], v2 offset0:32 offset1:144
	v_and_or_b32 v2, 0x180, v7, v41
	v_lshl_add_u32 v36, v5, 3, 0
	v_lshl_add_u32 v37, v3, 3, 0
	v_and_or_b32 v1, 0x80, v8, v39
	s_delay_alu instid0(VALU_DEP_4)
	v_lshl_add_u32 v35, v2, 3, 0
	ds_load_2addr_b64 v[2:5], v32 offset1:112
	ds_load_2addr_b64 v[17:20], v0 offset0:96 offset1:208
	global_wb scope:SCOPE_SE
	s_wait_loadcnt_dscnt 0x0
	v_lshl_add_u32 v23, v1, 3, 0
	s_barrier_signal -1
	s_barrier_wait -1
	global_inv scope:SCOPE_SE
	v_mul_f32_e32 v0, v22, v10
	v_dual_mul_f32 v1, v22, v9 :: v_dual_mul_f32 v8, v29, v12
	v_mul_f32_e32 v6, v29, v11
	v_mul_f32_e32 v22, v31, v14
	;; [unrolled: 1-line block ×4, first 2 shown]
	v_dual_mul_f32 v31, v34, v15 :: v_dual_fmac_f32 v0, v21, v9
	v_fma_f32 v1, v21, v10, -v1
	v_fmac_f32_e32 v8, v28, v11
	v_fma_f32 v9, v28, v12, -v6
	v_fmac_f32_e32 v22, v30, v13
	v_fma_f32 v11, v30, v14, -v7
	v_fmac_f32_e32 v29, v33, v15
	v_fma_f32 v12, v33, v16, -v31
	v_dual_sub_f32 v6, v2, v0 :: v_dual_sub_f32 v7, v3, v1
	v_sub_f32_e32 v8, v4, v8
	s_delay_alu instid0(VALU_DEP_4)
	v_sub_f32_e32 v0, v19, v29
	v_sub_f32_e32 v9, v5, v9
	v_dual_sub_f32 v10, v17, v22 :: v_dual_sub_f32 v11, v18, v11
	v_sub_f32_e32 v1, v20, v12
	v_fma_f32 v2, v2, 2.0, -v6
	v_fma_f32 v3, v3, 2.0, -v7
	;; [unrolled: 1-line block ×8, first 2 shown]
	ds_store_2addr_stride64_b64 v23, v[2:3], v[6:7] offset1:1
	ds_store_2addr_stride64_b64 v35, v[4:5], v[8:9] offset1:1
	;; [unrolled: 1-line block ×4, first 2 shown]
	global_wb scope:SCOPE_SE
	s_wait_dscnt 0x0
	s_barrier_signal -1
	s_barrier_wait -1
	global_inv scope:SCOPE_SE
	ds_load_2addr_stride64_b64 v[12:15], v32 offset1:2
	ds_load_2addr_stride64_b64 v[20:23], v32 offset0:4 offset1:6
	ds_load_2addr_stride64_b64 v[16:19], v32 offset0:8 offset1:10
	ds_load_b64 v[30:31], v32 offset:6144
                                        ; implicit-def: $vgpr5
                                        ; implicit-def: $vgpr9
                                        ; implicit-def: $vgpr29
	s_and_saveexec_b32 s1, s0
	s_cbranch_execz .LBB0_19
; %bb.18:
	v_add_nc_u32_e32 v8, 0x180, v32
	ds_load_2addr_b64 v[0:3], v32 offset0:112 offset1:240
	ds_load_2addr_stride64_b64 v[4:7], v8 offset0:5 offset1:7
	ds_load_2addr_stride64_b64 v[8:11], v8 offset0:9 offset1:11
	ds_load_b64 v[28:29], v32 offset:7040
.LBB0_19:
	s_wait_alu 0xfffe
	s_or_b32 exec_lo, exec_lo, s1
	v_mul_u32_u24_e32 v33, 6, v24
	s_delay_alu instid0(VALU_DEP_1)
	v_lshlrev_b32_e32 v41, 3, v33
	s_clause 0x2
	global_load_b128 v[33:36], v41, s[4:5] offset:1008
	global_load_b128 v[37:40], v41, s[4:5] offset:1024
	;; [unrolled: 1-line block ×3, first 2 shown]
	global_wb scope:SCOPE_SE
	s_wait_loadcnt_dscnt 0x0
	s_barrier_signal -1
	s_barrier_wait -1
	global_inv scope:SCOPE_SE
	v_dual_mul_f32 v45, v34, v15 :: v_dual_mul_f32 v46, v36, v21
	v_dual_mul_f32 v48, v40, v17 :: v_dual_mul_f32 v49, v42, v19
	s_delay_alu instid0(VALU_DEP_2) | instskip(SKIP_3) | instid1(VALU_DEP_4)
	v_dual_mul_f32 v40, v40, v16 :: v_dual_fmac_f32 v45, v33, v14
	v_mul_f32_e32 v34, v34, v14
	v_dual_mul_f32 v36, v36, v20 :: v_dual_mul_f32 v47, v38, v23
	v_mul_f32_e32 v50, v44, v31
	v_fma_f32 v17, v39, v17, -v40
	v_mul_f32_e32 v38, v38, v22
	v_fma_f32 v14, v33, v15, -v34
	v_mul_f32_e32 v44, v44, v30
	v_dual_fmac_f32 v46, v35, v20 :: v_dual_fmac_f32 v49, v41, v18
	v_fmac_f32_e32 v47, v37, v22
	v_fma_f32 v20, v37, v23, -v38
	v_fmac_f32_e32 v50, v43, v30
	v_fmac_f32_e32 v48, v39, v16
	v_mul_f32_e32 v42, v42, v18
	v_fma_f32 v15, v35, v21, -v36
	v_fma_f32 v16, v43, v31, -v44
	v_add_f32_e32 v31, v20, v17
	v_sub_f32_e32 v33, v48, v47
	v_fma_f32 v18, v41, v19, -v42
	v_sub_f32_e32 v17, v17, v20
	v_add_f32_e32 v19, v45, v50
	v_add_f32_e32 v21, v14, v16
	s_delay_alu instid0(VALU_DEP_4) | instskip(SKIP_3) | instid1(VALU_DEP_3)
	v_dual_sub_f32 v14, v14, v16 :: v_dual_add_f32 v23, v15, v18
	v_dual_add_f32 v16, v46, v49 :: v_dual_sub_f32 v15, v15, v18
	v_add_f32_e32 v18, v47, v48
	v_sub_f32_e32 v22, v45, v50
	v_dual_add_f32 v34, v23, v21 :: v_dual_sub_f32 v35, v16, v19
	v_dual_sub_f32 v36, v23, v21 :: v_dual_sub_f32 v21, v21, v31
	v_sub_f32_e32 v30, v46, v49
	v_dual_add_f32 v20, v16, v19 :: v_dual_sub_f32 v19, v19, v18
	v_dual_sub_f32 v16, v18, v16 :: v_dual_sub_f32 v23, v31, v23
	s_delay_alu instid0(VALU_DEP_3)
	v_add_f32_e32 v37, v33, v30
	v_add_f32_e32 v38, v17, v15
	v_sub_f32_e32 v39, v33, v30
	v_dual_sub_f32 v33, v22, v33 :: v_dual_sub_f32 v40, v17, v15
	v_sub_f32_e32 v17, v14, v17
	v_dual_sub_f32 v30, v30, v22 :: v_dual_mul_f32 v21, 0x3f4a47b2, v21
	v_dual_sub_f32 v15, v15, v14 :: v_dual_add_f32 v18, v18, v20
	v_dual_mul_f32 v19, 0x3f4a47b2, v19 :: v_dual_add_f32 v20, v31, v34
	v_dual_mul_f32 v31, 0x3d64c772, v16 :: v_dual_add_f32 v22, v37, v22
	;; [unrolled: 1-line block ×3, first 2 shown]
	s_delay_alu instid0(VALU_DEP_3)
	v_dual_add_f32 v13, v20, v13 :: v_dual_mul_f32 v34, 0x3d64c772, v23
	v_dual_fmamk_f32 v23, v23, 0x3d64c772, v21 :: v_dual_add_f32 v12, v18, v12
	v_fma_f32 v21, 0xbf3bfb3b, v36, -v21
	v_fmamk_f32 v16, v16, 0x3d64c772, v19
	v_mul_f32_e32 v38, 0x3f08b237, v40
	v_dual_mul_f32 v39, 0xbf5ff5aa, v30 :: v_dual_mul_f32 v40, 0xbf5ff5aa, v15
	v_fma_f32 v31, 0x3f3bfb3b, v35, -v31
	v_fma_f32 v19, 0xbf3bfb3b, v35, -v19
	v_fmamk_f32 v35, v33, 0xbeae86e6, v37
	v_fma_f32 v30, 0xbf5ff5aa, v30, -v37
	v_fma_f32 v37, 0xbf5ff5aa, v15, -v38
	v_fmamk_f32 v15, v18, 0xbf955555, v12
	v_fma_f32 v34, 0x3f3bfb3b, v36, -v34
	v_fma_f32 v33, 0x3eae86e6, v33, -v39
	s_delay_alu instid0(VALU_DEP_3) | instskip(SKIP_2) | instid1(VALU_DEP_1)
	v_dual_add_f32 v39, v16, v15 :: v_dual_fmamk_f32 v36, v17, 0xbeae86e6, v38
	v_fma_f32 v38, 0x3eae86e6, v17, -v40
	v_fmamk_f32 v17, v20, 0xbf955555, v13
	v_add_f32_e32 v40, v23, v17
	v_dual_add_f32 v20, v31, v15 :: v_dual_fmac_f32 v35, 0xbee1c552, v22
	v_add_f32_e32 v23, v21, v17
	v_dual_add_f32 v21, v34, v17 :: v_dual_fmac_f32 v36, 0xbee1c552, v14
	v_fmac_f32_e32 v33, 0xbee1c552, v22
	v_fmac_f32_e32 v30, 0xbee1c552, v22
	;; [unrolled: 1-line block ×3, first 2 shown]
	v_add_f32_e32 v22, v19, v15
	v_sub_f32_e32 v15, v40, v35
	v_dual_fmac_f32 v37, 0xbee1c552, v14 :: v_dual_add_f32 v14, v36, v39
	s_delay_alu instid0(VALU_DEP_1)
	v_dual_add_f32 v31, v35, v40 :: v_dual_sub_f32 v18, v20, v37
	v_sub_f32_e32 v17, v23, v33
	v_add_f32_e32 v19, v30, v21
	v_dual_add_f32 v16, v38, v22 :: v_dual_add_f32 v23, v33, v23
	v_add_f32_e32 v20, v37, v20
	v_dual_sub_f32 v21, v21, v30 :: v_dual_sub_f32 v30, v39, v36
	v_sub_f32_e32 v22, v22, v38
	ds_store_2addr_stride64_b64 v32, v[12:13], v[14:15] offset1:2
	ds_store_2addr_stride64_b64 v32, v[16:17], v[18:19] offset0:4 offset1:6
	ds_store_2addr_stride64_b64 v32, v[20:21], v[22:23] offset0:8 offset1:10
	ds_store_b64 v32, v[30:31] offset:6144
	s_and_saveexec_b32 s1, s0
	s_cbranch_execz .LBB0_21
; %bb.20:
	v_and_b32_e32 v12, 0x7f, v25
	s_delay_alu instid0(VALU_DEP_1) | instskip(NEXT) | instid1(VALU_DEP_1)
	v_mul_u32_u24_e32 v12, 6, v12
	v_lshlrev_b32_e32 v20, 3, v12
	s_clause 0x2
	global_load_b128 v[12:15], v20, s[4:5] offset:1008
	global_load_b128 v[16:19], v20, s[4:5] offset:1040
	;; [unrolled: 1-line block ×3, first 2 shown]
	s_wait_loadcnt 0x2
	v_dual_mul_f32 v30, v3, v13 :: v_dual_add_nc_u32 v25, 0x180, v32
	s_wait_loadcnt 0x1
	v_mul_f32_e32 v31, v29, v19
	s_wait_loadcnt 0x0
	v_dual_mul_f32 v33, v9, v23 :: v_dual_mul_f32 v34, v7, v21
	v_dual_mul_f32 v35, v5, v15 :: v_dual_mul_f32 v36, v11, v17
	v_mul_f32_e32 v19, v28, v19
	v_dual_mul_f32 v23, v8, v23 :: v_dual_fmac_f32 v30, v2, v12
	s_delay_alu instid0(VALU_DEP_4) | instskip(NEXT) | instid1(VALU_DEP_4)
	v_dual_mul_f32 v15, v4, v15 :: v_dual_fmac_f32 v34, v6, v20
	v_dual_fmac_f32 v31, v28, v18 :: v_dual_fmac_f32 v36, v10, v16
	v_mul_f32_e32 v21, v6, v21
	v_fmac_f32_e32 v35, v4, v14
	s_delay_alu instid0(VALU_DEP_4) | instskip(NEXT) | instid1(VALU_DEP_4)
	v_fma_f32 v5, v5, v14, -v15
	v_add_f32_e32 v14, v30, v31
	v_mul_f32_e32 v13, v2, v13
	v_mul_f32_e32 v17, v10, v17
	v_dual_fmac_f32 v33, v8, v22 :: v_dual_sub_f32 v8, v30, v31
	v_fma_f32 v2, v29, v18, -v19
	v_fma_f32 v4, v7, v20, -v21
	;; [unrolled: 1-line block ×4, first 2 shown]
	v_sub_f32_e32 v10, v35, v36
	v_fma_f32 v3, v3, v12, -v13
	s_delay_alu instid0(VALU_DEP_4) | instskip(NEXT) | instid1(VALU_DEP_4)
	v_dual_add_f32 v15, v34, v33 :: v_dual_add_f32 v12, v4, v6
	v_dual_add_f32 v13, v5, v7 :: v_dual_add_f32 v16, v35, v36
	v_sub_f32_e32 v9, v33, v34
	s_delay_alu instid0(VALU_DEP_4) | instskip(SKIP_3) | instid1(VALU_DEP_4)
	v_add_f32_e32 v11, v3, v2
	v_dual_sub_f32 v2, v3, v2 :: v_dual_sub_f32 v3, v6, v4
	v_sub_f32_e32 v4, v5, v7
	v_sub_f32_e32 v20, v15, v16
	v_dual_add_f32 v18, v13, v11 :: v_dual_sub_f32 v5, v8, v9
	s_delay_alu instid0(VALU_DEP_4) | instskip(SKIP_3) | instid1(VALU_DEP_3)
	v_sub_f32_e32 v22, v2, v3
	v_sub_f32_e32 v6, v9, v10
	v_dual_add_f32 v7, v9, v10 :: v_dual_sub_f32 v10, v10, v8
	v_sub_f32_e32 v9, v11, v12
	v_dual_sub_f32 v17, v12, v13 :: v_dual_mul_f32 v6, 0x3f08b237, v6
	v_dual_sub_f32 v23, v3, v4 :: v_dual_add_f32 v12, v12, v18
	v_dual_add_f32 v3, v3, v4 :: v_dual_sub_f32 v4, v4, v2
	v_sub_f32_e32 v19, v14, v15
	v_sub_f32_e32 v11, v13, v11
	;; [unrolled: 1-line block ×3, first 2 shown]
	v_dual_add_f32 v7, v7, v8 :: v_dual_mul_f32 v8, 0x3f4a47b2, v9
	s_delay_alu instid0(VALU_DEP_4)
	v_dual_add_f32 v21, v16, v14 :: v_dual_mul_f32 v14, 0x3f4a47b2, v19
	v_mul_f32_e32 v18, 0x3f08b237, v23
	v_dual_mul_f32 v9, 0x3d64c772, v17 :: v_dual_add_f32 v2, v3, v2
	v_mul_f32_e32 v3, 0xbf5ff5aa, v10
	v_mul_f32_e32 v16, 0x3d64c772, v20
	v_dual_add_f32 v1, v1, v12 :: v_dual_fmamk_f32 v20, v20, 0x3d64c772, v14
	v_fmamk_f32 v17, v17, 0x3d64c772, v8
	s_delay_alu instid0(VALU_DEP_4)
	v_fma_f32 v28, 0x3eae86e6, v5, -v3
	v_add_f32_e32 v15, v15, v21
	v_fma_f32 v3, 0xbf3bfb3b, v11, -v8
	v_fma_f32 v8, 0x3f3bfb3b, v11, -v9
	v_fmamk_f32 v9, v12, 0xbf955555, v1
	v_mul_f32_e32 v19, 0xbf5ff5aa, v4
	v_fmac_f32_e32 v28, 0xbee1c552, v7
	v_dual_add_f32 v0, v0, v15 :: v_dual_fmamk_f32 v21, v5, 0xbeae86e6, v6
	s_delay_alu instid0(VALU_DEP_4) | instskip(SKIP_2) | instid1(VALU_DEP_4)
	v_add_f32_e32 v8, v8, v9
	v_fma_f32 v6, 0xbf5ff5aa, v10, -v6
	v_add_f32_e32 v11, v3, v9
	v_fmamk_f32 v10, v15, 0xbf955555, v0
	v_fma_f32 v5, 0xbf3bfb3b, v13, -v14
	v_fmamk_f32 v23, v22, 0xbeae86e6, v18
	v_fma_f32 v14, 0x3eae86e6, v22, -v19
	v_fma_f32 v18, 0xbf5ff5aa, v4, -v18
	;; [unrolled: 1-line block ×3, first 2 shown]
	v_dual_add_f32 v16, v5, v10 :: v_dual_fmac_f32 v21, 0xbee1c552, v7
	v_dual_fmac_f32 v23, 0xbee1c552, v2 :: v_dual_fmac_f32 v6, 0xbee1c552, v7
	v_fmac_f32_e32 v14, 0xbee1c552, v2
	v_fmac_f32_e32 v18, 0xbee1c552, v2
	v_dual_add_f32 v2, v17, v9 :: v_dual_add_f32 v15, v20, v10
	s_delay_alu instid0(VALU_DEP_3) | instskip(SKIP_1) | instid1(VALU_DEP_3)
	v_dual_add_f32 v17, v4, v10 :: v_dual_add_f32 v10, v14, v16
	v_add_f32_e32 v5, v28, v11
	v_dual_sub_f32 v13, v2, v21 :: v_dual_add_f32 v12, v23, v15
	v_sub_f32_e32 v7, v8, v6
	s_delay_alu instid0(VALU_DEP_4)
	v_dual_add_f32 v9, v6, v8 :: v_dual_sub_f32 v8, v17, v18
	v_sub_f32_e32 v11, v11, v28
	v_dual_add_f32 v3, v21, v2 :: v_dual_add_f32 v6, v18, v17
	v_sub_f32_e32 v4, v16, v14
	v_sub_f32_e32 v2, v15, v23
	ds_store_2addr_b64 v32, v[0:1], v[12:13] offset0:112 offset1:240
	ds_store_2addr_stride64_b64 v25, v[10:11], v[8:9] offset0:5 offset1:7
	ds_store_2addr_stride64_b64 v25, v[6:7], v[4:5] offset0:9 offset1:11
	ds_store_b64 v32, v[2:3] offset:7040
.LBB0_21:
	s_wait_alu 0xfffe
	s_or_b32 exec_lo, exec_lo, s1
	global_wb scope:SCOPE_SE
	s_wait_dscnt 0x0
	s_barrier_signal -1
	s_barrier_wait -1
	global_inv scope:SCOPE_SE
	s_and_saveexec_b32 s0, vcc_lo
	s_cbranch_execz .LBB0_23
; %bb.22:
	v_dual_mov_b32 v25, 0 :: v_dual_add_nc_u32 v4, 0x70, v24
	v_lshl_add_u32 v30, v24, 3, 0
	v_add_co_u32 v32, vcc_lo, s8, v26
	s_delay_alu instid0(VALU_DEP_3)
	v_dual_mov_b32 v5, v25 :: v_dual_add_nc_u32 v8, 0xe0, v24
	v_lshlrev_b64_e32 v[6:7], 3, v[24:25]
	v_mov_b32_e32 v9, v25
	s_wait_alu 0xfffd
	v_add_co_ci_u32_e32 v33, vcc_lo, s9, v27, vcc_lo
	v_lshlrev_b64_e32 v[4:5], 3, v[4:5]
	v_dual_mov_b32 v11, v25 :: v_dual_add_nc_u32 v10, 0x150, v24
	v_add_co_u32 v16, vcc_lo, v32, v6
	v_add_nc_u32_e32 v6, 0x400, v30
	v_lshlrev_b64_e32 v[8:9], 3, v[8:9]
	s_wait_alu 0xfffd
	v_add_co_ci_u32_e32 v17, vcc_lo, v33, v7, vcc_lo
	v_add_co_u32 v18, vcc_lo, v32, v4
	s_wait_alu 0xfffd
	v_add_co_ci_u32_e32 v19, vcc_lo, v33, v5, vcc_lo
	v_add_co_u32 v20, vcc_lo, v32, v8
	v_dual_mov_b32 v13, v25 :: v_dual_add_nc_u32 v12, 0x1c0, v24
	s_wait_alu 0xfffd
	v_add_co_ci_u32_e32 v21, vcc_lo, v33, v9, vcc_lo
	v_lshlrev_b64_e32 v[8:9], 3, v[10:11]
	v_dual_mov_b32 v15, v25 :: v_dual_add_nc_u32 v10, 0xc00, v30
	v_dual_mov_b32 v29, v25 :: v_dual_add_nc_u32 v14, 0x230, v24
	v_lshlrev_b64_e32 v[12:13], 3, v[12:13]
	ds_load_2addr_b64 v[0:3], v30 offset1:112
	v_add_co_u32 v22, vcc_lo, v32, v8
	v_lshlrev_b64_e32 v[26:27], 3, v[14:15]
	v_add_nc_u32_e32 v14, 0x1400, v30
	ds_load_2addr_b64 v[4:7], v6 offset0:96 offset1:208
	s_wait_alu 0xfffd
	v_add_co_ci_u32_e32 v23, vcc_lo, v33, v9, vcc_lo
	ds_load_2addr_b64 v[8:11], v10 offset0:64 offset1:176
	v_add_nc_u32_e32 v28, 0x2a0, v24
	v_add_co_u32 v30, vcc_lo, v32, v12
	s_wait_alu 0xfffd
	v_add_co_ci_u32_e32 v31, vcc_lo, v33, v13, vcc_lo
	ds_load_2addr_b64 v[12:15], v14 offset0:32 offset1:144
	v_add_nc_u32_e32 v24, 0x310, v24
	v_lshlrev_b64_e32 v[28:29], 3, v[28:29]
	v_add_co_u32 v26, vcc_lo, v32, v26
	s_wait_alu 0xfffd
	v_add_co_ci_u32_e32 v27, vcc_lo, v33, v27, vcc_lo
	v_lshlrev_b64_e32 v[24:25], 3, v[24:25]
	s_delay_alu instid0(VALU_DEP_4) | instskip(SKIP_2) | instid1(VALU_DEP_3)
	v_add_co_u32 v28, vcc_lo, v32, v28
	s_wait_alu 0xfffd
	v_add_co_ci_u32_e32 v29, vcc_lo, v33, v29, vcc_lo
	v_add_co_u32 v24, vcc_lo, v32, v24
	s_wait_alu 0xfffd
	v_add_co_ci_u32_e32 v25, vcc_lo, v33, v25, vcc_lo
	s_wait_dscnt 0x3
	s_clause 0x1
	global_store_b64 v[16:17], v[0:1], off
	global_store_b64 v[18:19], v[2:3], off
	s_wait_dscnt 0x2
	s_clause 0x1
	global_store_b64 v[20:21], v[4:5], off
	global_store_b64 v[22:23], v[6:7], off
	;; [unrolled: 4-line block ×4, first 2 shown]
.LBB0_23:
	s_nop 0
	s_sendmsg sendmsg(MSG_DEALLOC_VGPRS)
	s_endpgm
	.section	.rodata,"a",@progbits
	.p2align	6, 0x0
	.amdhsa_kernel fft_rtc_back_len896_factors_2_2_2_2_2_2_2_7_wgs_112_tpt_112_sp_ip_CI_unitstride_sbrr_C2R_dirReg
		.amdhsa_group_segment_fixed_size 0
		.amdhsa_private_segment_fixed_size 0
		.amdhsa_kernarg_size 88
		.amdhsa_user_sgpr_count 2
		.amdhsa_user_sgpr_dispatch_ptr 0
		.amdhsa_user_sgpr_queue_ptr 0
		.amdhsa_user_sgpr_kernarg_segment_ptr 1
		.amdhsa_user_sgpr_dispatch_id 0
		.amdhsa_user_sgpr_private_segment_size 0
		.amdhsa_wavefront_size32 1
		.amdhsa_uses_dynamic_stack 0
		.amdhsa_enable_private_segment 0
		.amdhsa_system_sgpr_workgroup_id_x 1
		.amdhsa_system_sgpr_workgroup_id_y 0
		.amdhsa_system_sgpr_workgroup_id_z 0
		.amdhsa_system_sgpr_workgroup_info 0
		.amdhsa_system_vgpr_workitem_id 0
		.amdhsa_next_free_vgpr 51
		.amdhsa_next_free_sgpr 32
		.amdhsa_reserve_vcc 1
		.amdhsa_float_round_mode_32 0
		.amdhsa_float_round_mode_16_64 0
		.amdhsa_float_denorm_mode_32 3
		.amdhsa_float_denorm_mode_16_64 3
		.amdhsa_fp16_overflow 0
		.amdhsa_workgroup_processor_mode 1
		.amdhsa_memory_ordered 1
		.amdhsa_forward_progress 0
		.amdhsa_round_robin_scheduling 0
		.amdhsa_exception_fp_ieee_invalid_op 0
		.amdhsa_exception_fp_denorm_src 0
		.amdhsa_exception_fp_ieee_div_zero 0
		.amdhsa_exception_fp_ieee_overflow 0
		.amdhsa_exception_fp_ieee_underflow 0
		.amdhsa_exception_fp_ieee_inexact 0
		.amdhsa_exception_int_div_zero 0
	.end_amdhsa_kernel
	.text
.Lfunc_end0:
	.size	fft_rtc_back_len896_factors_2_2_2_2_2_2_2_7_wgs_112_tpt_112_sp_ip_CI_unitstride_sbrr_C2R_dirReg, .Lfunc_end0-fft_rtc_back_len896_factors_2_2_2_2_2_2_2_7_wgs_112_tpt_112_sp_ip_CI_unitstride_sbrr_C2R_dirReg
                                        ; -- End function
	.section	.AMDGPU.csdata,"",@progbits
; Kernel info:
; codeLenInByte = 7508
; NumSgprs: 34
; NumVgprs: 51
; ScratchSize: 0
; MemoryBound: 0
; FloatMode: 240
; IeeeMode: 1
; LDSByteSize: 0 bytes/workgroup (compile time only)
; SGPRBlocks: 4
; VGPRBlocks: 6
; NumSGPRsForWavesPerEU: 34
; NumVGPRsForWavesPerEU: 51
; Occupancy: 16
; WaveLimiterHint : 1
; COMPUTE_PGM_RSRC2:SCRATCH_EN: 0
; COMPUTE_PGM_RSRC2:USER_SGPR: 2
; COMPUTE_PGM_RSRC2:TRAP_HANDLER: 0
; COMPUTE_PGM_RSRC2:TGID_X_EN: 1
; COMPUTE_PGM_RSRC2:TGID_Y_EN: 0
; COMPUTE_PGM_RSRC2:TGID_Z_EN: 0
; COMPUTE_PGM_RSRC2:TIDIG_COMP_CNT: 0
	.text
	.p2alignl 7, 3214868480
	.fill 96, 4, 3214868480
	.type	__hip_cuid_c19199693fa16a9f,@object ; @__hip_cuid_c19199693fa16a9f
	.section	.bss,"aw",@nobits
	.globl	__hip_cuid_c19199693fa16a9f
__hip_cuid_c19199693fa16a9f:
	.byte	0                               ; 0x0
	.size	__hip_cuid_c19199693fa16a9f, 1

	.ident	"AMD clang version 19.0.0git (https://github.com/RadeonOpenCompute/llvm-project roc-6.4.0 25133 c7fe45cf4b819c5991fe208aaa96edf142730f1d)"
	.section	".note.GNU-stack","",@progbits
	.addrsig
	.addrsig_sym __hip_cuid_c19199693fa16a9f
	.amdgpu_metadata
---
amdhsa.kernels:
  - .args:
      - .actual_access:  read_only
        .address_space:  global
        .offset:         0
        .size:           8
        .value_kind:     global_buffer
      - .offset:         8
        .size:           8
        .value_kind:     by_value
      - .actual_access:  read_only
        .address_space:  global
        .offset:         16
        .size:           8
        .value_kind:     global_buffer
      - .actual_access:  read_only
        .address_space:  global
        .offset:         24
        .size:           8
        .value_kind:     global_buffer
      - .offset:         32
        .size:           8
        .value_kind:     by_value
      - .actual_access:  read_only
        .address_space:  global
        .offset:         40
        .size:           8
        .value_kind:     global_buffer
      - .actual_access:  read_only
        .address_space:  global
        .offset:         48
        .size:           8
        .value_kind:     global_buffer
      - .offset:         56
        .size:           4
        .value_kind:     by_value
      - .actual_access:  read_only
        .address_space:  global
        .offset:         64
        .size:           8
        .value_kind:     global_buffer
      - .actual_access:  read_only
        .address_space:  global
        .offset:         72
        .size:           8
        .value_kind:     global_buffer
      - .address_space:  global
        .offset:         80
        .size:           8
        .value_kind:     global_buffer
    .group_segment_fixed_size: 0
    .kernarg_segment_align: 8
    .kernarg_segment_size: 88
    .language:       OpenCL C
    .language_version:
      - 2
      - 0
    .max_flat_workgroup_size: 112
    .name:           fft_rtc_back_len896_factors_2_2_2_2_2_2_2_7_wgs_112_tpt_112_sp_ip_CI_unitstride_sbrr_C2R_dirReg
    .private_segment_fixed_size: 0
    .sgpr_count:     34
    .sgpr_spill_count: 0
    .symbol:         fft_rtc_back_len896_factors_2_2_2_2_2_2_2_7_wgs_112_tpt_112_sp_ip_CI_unitstride_sbrr_C2R_dirReg.kd
    .uniform_work_group_size: 1
    .uses_dynamic_stack: false
    .vgpr_count:     51
    .vgpr_spill_count: 0
    .wavefront_size: 32
    .workgroup_processor_mode: 1
amdhsa.target:   amdgcn-amd-amdhsa--gfx1201
amdhsa.version:
  - 1
  - 2
...

	.end_amdgpu_metadata
